;; amdgpu-corpus repo=ROCm/rocFFT kind=compiled arch=gfx906 opt=O3
	.text
	.amdgcn_target "amdgcn-amd-amdhsa--gfx906"
	.amdhsa_code_object_version 6
	.protected	fft_rtc_back_len52_factors_13_4_wgs_208_tpt_13_dp_op_CI_CI_sbcc_twdbase8_2step_dirReg ; -- Begin function fft_rtc_back_len52_factors_13_4_wgs_208_tpt_13_dp_op_CI_CI_sbcc_twdbase8_2step_dirReg
	.globl	fft_rtc_back_len52_factors_13_4_wgs_208_tpt_13_dp_op_CI_CI_sbcc_twdbase8_2step_dirReg
	.p2align	8
	.type	fft_rtc_back_len52_factors_13_4_wgs_208_tpt_13_dp_op_CI_CI_sbcc_twdbase8_2step_dirReg,@function
fft_rtc_back_len52_factors_13_4_wgs_208_tpt_13_dp_op_CI_CI_sbcc_twdbase8_2step_dirReg: ; @fft_rtc_back_len52_factors_13_4_wgs_208_tpt_13_dp_op_CI_CI_sbcc_twdbase8_2step_dirReg
; %bb.0:
	s_load_dwordx4 s[0:3], s[4:5], 0x18
	s_load_dwordx2 s[30:31], s[4:5], 0x28
	s_mov_b32 s7, 0
	s_mov_b64 s[24:25], 0
	s_waitcnt lgkmcnt(0)
	s_load_dwordx2 s[28:29], s[0:1], 0x8
	s_waitcnt lgkmcnt(0)
	s_add_u32 s8, s28, -1
	s_addc_u32 s9, s29, -1
	s_lshr_b64 s[8:9], s[8:9], 4
	s_add_u32 s34, s8, 1
	s_addc_u32 s35, s9, 0
	v_mov_b32_e32 v1, s34
	v_mov_b32_e32 v2, s35
	v_cmp_lt_u64_e32 vcc, s[6:7], v[1:2]
	s_cbranch_vccnz .LBB0_2
; %bb.1:
	v_cvt_f32_u32_e32 v1, s34
	s_sub_i32 s8, 0, s34
	s_mov_b32 s25, s7
	v_rcp_iflag_f32_e32 v1, v1
	v_mul_f32_e32 v1, 0x4f7ffffe, v1
	v_cvt_u32_f32_e32 v1, v1
	v_readfirstlane_b32 s9, v1
	s_mul_i32 s8, s8, s9
	s_mul_hi_u32 s8, s9, s8
	s_add_i32 s9, s9, s8
	s_mul_hi_u32 s8, s6, s9
	s_mul_i32 s10, s8, s34
	s_sub_i32 s10, s6, s10
	s_add_i32 s9, s8, 1
	s_sub_i32 s11, s10, s34
	s_cmp_ge_u32 s10, s34
	s_cselect_b32 s8, s9, s8
	s_cselect_b32 s10, s11, s10
	s_add_i32 s9, s8, 1
	s_cmp_ge_u32 s10, s34
	s_cselect_b32 s24, s9, s8
.LBB0_2:
	s_mul_i32 s16, s24, s35
	s_mul_hi_u32 s17, s24, s34
	s_load_dwordx4 s[12:15], s[4:5], 0x60
	s_load_dwordx4 s[20:23], s[2:3], 0x0
	;; [unrolled: 1-line block ×3, first 2 shown]
	s_add_i32 s17, s17, s16
	s_mul_i32 s16, s24, s34
	s_sub_u32 s36, s6, s16
	s_subb_u32 s37, 0, s17
	v_mov_b32_e32 v1, s36
	v_alignbit_b32 v1, s37, v1, 28
	s_waitcnt lgkmcnt(0)
	v_mul_lo_u32 v2, s22, v1
	s_load_dwordx2 s[26:27], s[4:5], 0x0
	s_load_dwordx4 s[16:19], s[4:5], 0x8
	s_lshl_b64 s[4:5], s[36:37], 4
	s_mul_hi_u32 s33, s22, s4
	v_mul_lo_u32 v1, s10, v1
	v_add_u32_e32 v2, s33, v2
	s_mul_i32 s33, s23, s4
	v_add_u32_e32 v3, s33, v2
	s_mul_i32 s33, s22, s4
	v_mov_b32_e32 v4, s33
	s_mul_hi_u32 s33, s10, s4
	v_add_u32_e32 v1, s33, v1
	s_mul_i32 s33, s11, s4
	s_waitcnt lgkmcnt(0)
	v_cmp_lt_u64_e64 s[36:37], s[18:19], 3
	v_add_u32_e32 v62, s33, v1
	s_mul_i32 s33, s10, s4
	v_mov_b32_e32 v61, s33
	s_and_b64 vcc, exec, s[36:37]
	s_cbranch_vccnz .LBB0_11
; %bb.3:
	s_add_u32 s36, s30, 16
	s_addc_u32 s37, s31, 0
	s_add_u32 s38, s2, 16
	s_addc_u32 s39, s3, 0
	s_add_u32 s40, s0, 16
	v_mov_b32_e32 v1, s18
	s_addc_u32 s41, s1, 0
	s_mov_b64 s[42:43], 2
	s_mov_b32 s44, 0
	v_mov_b32_e32 v2, s19
	s_branch .LBB0_5
.LBB0_4:                                ;   in Loop: Header=BB0_5 Depth=1
	s_mul_i32 s33, s46, s35
	s_mul_hi_u32 s35, s46, s34
	s_add_i32 s33, s35, s33
	s_mul_i32 s35, s47, s34
	s_add_i32 s35, s33, s35
	s_mul_i32 s33, s0, s47
	s_mul_hi_u32 s45, s0, s46
	s_load_dwordx2 s[48:49], s[38:39], 0x0
	s_add_i32 s33, s45, s33
	s_mul_i32 s45, s1, s46
	s_add_i32 s33, s33, s45
	s_mul_i32 s45, s0, s46
	s_sub_u32 s45, s24, s45
	s_subb_u32 s33, s25, s33
	s_waitcnt lgkmcnt(0)
	s_mul_i32 s24, s48, s33
	s_mul_hi_u32 s25, s48, s45
	s_add_i32 s24, s25, s24
	s_mul_i32 s25, s49, s45
	s_add_i32 s24, s24, s25
	v_mov_b32_e32 v5, s24
	s_load_dwordx2 s[24:25], s[36:37], 0x0
	s_mul_i32 s34, s46, s34
	s_mul_i32 s46, s48, s45
	v_add_co_u32_e32 v4, vcc, s46, v4
	s_waitcnt lgkmcnt(0)
	s_mul_i32 s33, s24, s33
	s_mul_hi_u32 s46, s24, s45
	s_add_i32 s33, s46, s33
	s_mul_i32 s25, s25, s45
	s_add_i32 s25, s33, s25
	s_add_u32 s42, s42, 1
	s_addc_u32 s43, s43, 0
	v_addc_co_u32_e32 v3, vcc, v5, v3, vcc
	s_mul_i32 s24, s24, s45
	s_add_u32 s36, s36, 8
	v_mov_b32_e32 v5, s25
	v_add_co_u32_e32 v61, vcc, s24, v61
	s_addc_u32 s37, s37, 0
	v_addc_co_u32_e32 v62, vcc, v5, v62, vcc
	s_add_u32 s38, s38, 8
	s_addc_u32 s39, s39, 0
	v_cmp_ge_u64_e32 vcc, s[42:43], v[1:2]
	s_add_u32 s40, s40, 8
	s_addc_u32 s41, s41, 0
	s_mov_b64 s[24:25], s[0:1]
	s_cbranch_vccnz .LBB0_9
.LBB0_5:                                ; =>This Inner Loop Header: Depth=1
	s_load_dwordx2 s[46:47], s[40:41], 0x0
	s_waitcnt lgkmcnt(0)
	s_or_b64 s[0:1], s[24:25], s[46:47]
	s_mov_b32 s45, s1
	s_cmp_lg_u64 s[44:45], 0
	s_cbranch_scc0 .LBB0_7
; %bb.6:                                ;   in Loop: Header=BB0_5 Depth=1
	v_cvt_f32_u32_e32 v5, s46
	v_cvt_f32_u32_e32 v6, s47
	s_sub_u32 s0, 0, s46
	s_subb_u32 s1, 0, s47
	v_mac_f32_e32 v5, 0x4f800000, v6
	v_rcp_f32_e32 v5, v5
	v_mul_f32_e32 v5, 0x5f7ffffc, v5
	v_mul_f32_e32 v6, 0x2f800000, v5
	v_trunc_f32_e32 v6, v6
	v_mac_f32_e32 v5, 0xcf800000, v6
	v_cvt_u32_f32_e32 v6, v6
	v_cvt_u32_f32_e32 v5, v5
	v_readfirstlane_b32 s33, v6
	v_readfirstlane_b32 s45, v5
	s_mul_i32 s48, s0, s33
	s_mul_hi_u32 s50, s0, s45
	s_mul_i32 s49, s1, s45
	s_add_i32 s48, s50, s48
	s_mul_i32 s51, s0, s45
	s_add_i32 s48, s48, s49
	s_mul_hi_u32 s49, s45, s48
	s_mul_i32 s50, s45, s48
	s_mul_hi_u32 s45, s45, s51
	s_add_u32 s45, s45, s50
	s_addc_u32 s49, 0, s49
	s_mul_hi_u32 s52, s33, s51
	s_mul_i32 s51, s33, s51
	s_add_u32 s45, s45, s51
	s_mul_hi_u32 s50, s33, s48
	s_addc_u32 s45, s49, s52
	s_addc_u32 s49, s50, 0
	s_mul_i32 s48, s33, s48
	s_add_u32 s45, s45, s48
	s_addc_u32 s48, 0, s49
	v_add_co_u32_e32 v5, vcc, s45, v5
	s_cmp_lg_u64 vcc, 0
	s_addc_u32 s33, s33, s48
	v_readfirstlane_b32 s48, v5
	s_mul_i32 s45, s0, s33
	s_mul_hi_u32 s49, s0, s48
	s_add_i32 s45, s49, s45
	s_mul_i32 s1, s1, s48
	s_add_i32 s45, s45, s1
	s_mul_i32 s0, s0, s48
	s_mul_hi_u32 s49, s33, s0
	s_mul_i32 s50, s33, s0
	s_mul_i32 s52, s48, s45
	s_mul_hi_u32 s0, s48, s0
	s_mul_hi_u32 s51, s48, s45
	s_add_u32 s0, s0, s52
	s_addc_u32 s48, 0, s51
	s_add_u32 s0, s0, s50
	s_mul_hi_u32 s1, s33, s45
	s_addc_u32 s0, s48, s49
	s_addc_u32 s1, s1, 0
	s_mul_i32 s45, s33, s45
	s_add_u32 s0, s0, s45
	s_addc_u32 s1, 0, s1
	v_add_co_u32_e32 v5, vcc, s0, v5
	s_cmp_lg_u64 vcc, 0
	s_addc_u32 s0, s33, s1
	v_readfirstlane_b32 s45, v5
	s_mul_i32 s33, s24, s0
	s_mul_hi_u32 s48, s24, s45
	s_mul_hi_u32 s1, s24, s0
	s_add_u32 s33, s48, s33
	s_addc_u32 s1, 0, s1
	s_mul_hi_u32 s49, s25, s45
	s_mul_i32 s45, s25, s45
	s_add_u32 s33, s33, s45
	s_mul_hi_u32 s48, s25, s0
	s_addc_u32 s1, s1, s49
	s_addc_u32 s33, s48, 0
	s_mul_i32 s0, s25, s0
	s_add_u32 s45, s1, s0
	s_addc_u32 s33, 0, s33
	s_mul_i32 s0, s46, s33
	s_mul_hi_u32 s1, s46, s45
	s_add_i32 s0, s1, s0
	s_mul_i32 s1, s47, s45
	s_add_i32 s48, s0, s1
	s_mul_i32 s1, s46, s45
	v_mov_b32_e32 v5, s1
	s_sub_i32 s0, s25, s48
	v_sub_co_u32_e32 v5, vcc, s24, v5
	s_cmp_lg_u64 vcc, 0
	s_subb_u32 s49, s0, s47
	v_subrev_co_u32_e64 v6, s[0:1], s46, v5
	s_cmp_lg_u64 s[0:1], 0
	s_subb_u32 s0, s49, 0
	s_cmp_ge_u32 s0, s47
	v_readfirstlane_b32 s49, v6
	s_cselect_b32 s1, -1, 0
	s_cmp_ge_u32 s49, s46
	s_cselect_b32 s49, -1, 0
	s_cmp_eq_u32 s0, s47
	s_cselect_b32 s0, s49, s1
	s_add_u32 s1, s45, 1
	s_addc_u32 s49, s33, 0
	s_add_u32 s50, s45, 2
	s_addc_u32 s51, s33, 0
	s_cmp_lg_u32 s0, 0
	s_cselect_b32 s0, s50, s1
	s_cselect_b32 s1, s51, s49
	s_cmp_lg_u64 vcc, 0
	s_subb_u32 s48, s25, s48
	s_cmp_ge_u32 s48, s47
	v_readfirstlane_b32 s50, v5
	s_cselect_b32 s49, -1, 0
	s_cmp_ge_u32 s50, s46
	s_cselect_b32 s50, -1, 0
	s_cmp_eq_u32 s48, s47
	s_cselect_b32 s48, s50, s49
	s_cmp_lg_u32 s48, 0
	s_cselect_b32 s1, s1, s33
	s_cselect_b32 s0, s0, s45
	s_cbranch_execnz .LBB0_4
	s_branch .LBB0_8
.LBB0_7:                                ;   in Loop: Header=BB0_5 Depth=1
                                        ; implicit-def: $sgpr0_sgpr1
.LBB0_8:                                ;   in Loop: Header=BB0_5 Depth=1
	v_cvt_f32_u32_e32 v5, s46
	s_sub_i32 s0, 0, s46
	v_rcp_iflag_f32_e32 v5, v5
	v_mul_f32_e32 v5, 0x4f7ffffe, v5
	v_cvt_u32_f32_e32 v5, v5
	v_readfirstlane_b32 s1, v5
	s_mul_i32 s0, s0, s1
	s_mul_hi_u32 s0, s1, s0
	s_add_i32 s1, s1, s0
	s_mul_hi_u32 s0, s24, s1
	s_mul_i32 s33, s0, s46
	s_sub_i32 s33, s24, s33
	s_add_i32 s1, s0, 1
	s_sub_i32 s45, s33, s46
	s_cmp_ge_u32 s33, s46
	s_cselect_b32 s0, s1, s0
	s_cselect_b32 s33, s45, s33
	s_add_i32 s1, s0, 1
	s_cmp_ge_u32 s33, s46
	s_cselect_b32 s0, s1, s0
	s_mov_b32 s1, s44
	s_branch .LBB0_4
.LBB0_9:
	v_mov_b32_e32 v1, s34
	v_mov_b32_e32 v2, s35
	v_cmp_lt_u64_e32 vcc, s[6:7], v[1:2]
	s_mov_b64 s[24:25], 0
	s_cbranch_vccnz .LBB0_11
; %bb.10:
	v_cvt_f32_u32_e32 v1, s34
	s_sub_i32 s0, 0, s34
	v_rcp_iflag_f32_e32 v1, v1
	v_mul_f32_e32 v1, 0x4f7ffffe, v1
	v_cvt_u32_f32_e32 v1, v1
	v_readfirstlane_b32 s1, v1
	s_mul_i32 s0, s0, s1
	s_mul_hi_u32 s0, s1, s0
	s_add_i32 s1, s1, s0
	s_mul_hi_u32 s0, s6, s1
	s_mul_i32 s7, s0, s34
	s_sub_i32 s6, s6, s7
	s_add_i32 s1, s0, 1
	s_sub_i32 s7, s6, s34
	s_cmp_ge_u32 s6, s34
	s_cselect_b32 s0, s1, s0
	s_cselect_b32 s6, s7, s6
	s_add_i32 s1, s0, 1
	s_cmp_ge_u32 s6, s34
	s_cselect_b32 s24, s1, s0
.LBB0_11:
	s_lshl_b64 s[0:1], s[18:19], 3
	s_add_u32 s2, s2, s0
	s_addc_u32 s3, s3, s1
	s_load_dwordx2 s[2:3], s[2:3], 0x0
	v_lshrrev_b32_e32 v113, 4, v0
	v_and_b32_e32 v112, 15, v0
	v_or_b32_e32 v70, 4, v113
	v_or_b32_e32 v69, 8, v113
	s_waitcnt lgkmcnt(0)
	s_mul_i32 s3, s3, s24
	s_mul_hi_u32 s6, s2, s24
	s_add_i32 s3, s6, s3
	s_mul_i32 s2, s2, s24
	s_add_u32 s6, s30, s0
	v_mov_b32_e32 v2, s3
	v_add_co_u32_e32 v1, vcc, s2, v4
	s_addc_u32 s7, s31, s1
	v_addc_co_u32_e32 v2, vcc, v2, v3, vcc
	s_add_u32 s0, s4, 16
	v_mov_b32_e32 v3, s28
	s_addc_u32 s1, s5, 0
	v_mov_b32_e32 v4, s29
	v_cmp_le_u64_e32 vcc, s[0:1], v[3:4]
	v_cmp_gt_u32_e64 s[2:3], 64, v0
	v_lshlrev_b64 v[53:54], 4, v[1:2]
	s_and_b64 s[0:1], s[2:3], vcc
	v_or_b32_e32 v68, 12, v113
	v_or_b32_e32 v67, 16, v113
	;; [unrolled: 1-line block ×10, first 2 shown]
                                        ; implicit-def: $vgpr43_vgpr44
                                        ; implicit-def: $vgpr51_vgpr52
                                        ; implicit-def: $vgpr11_vgpr12
                                        ; implicit-def: $vgpr7_vgpr8
                                        ; implicit-def: $vgpr19_vgpr20
                                        ; implicit-def: $vgpr23_vgpr24
                                        ; implicit-def: $vgpr27_vgpr28
                                        ; implicit-def: $vgpr15_vgpr16
                                        ; implicit-def: $vgpr31_vgpr32
                                        ; implicit-def: $vgpr35_vgpr36
                                        ; implicit-def: $vgpr39_vgpr40
                                        ; implicit-def: $vgpr47_vgpr48
                                        ; implicit-def: $vgpr3_vgpr4
	s_and_saveexec_b64 s[18:19], s[0:1]
	s_cbranch_execz .LBB0_13
; %bb.12:
	v_mad_u64_u32 v[1:2], s[0:1], s22, v112, 0
	v_mad_u64_u32 v[3:4], s[0:1], s20, v113, 0
	v_mad_u64_u32 v[5:6], s[0:1], s23, v112, v[2:3]
	v_mov_b32_e32 v2, v4
	v_mad_u64_u32 v[6:7], s[0:1], s21, v113, v[2:3]
	v_mov_b32_e32 v2, v5
	v_mov_b32_e32 v5, s13
	v_add_co_u32_e64 v7, s[0:1], s12, v53
	v_mov_b32_e32 v4, v6
	v_addc_co_u32_e64 v8, s[0:1], v5, v54, s[0:1]
	v_mad_u64_u32 v[5:6], s[0:1], s20, v70, 0
	v_lshlrev_b64 v[1:2], 4, v[1:2]
	v_add_co_u32_e64 v9, s[0:1], v7, v1
	v_addc_co_u32_e64 v10, s[0:1], v8, v2, s[0:1]
	v_lshlrev_b64 v[1:2], 4, v[3:4]
	v_mov_b32_e32 v3, v6
	v_mad_u64_u32 v[3:4], s[0:1], s21, v70, v[3:4]
	v_mad_u64_u32 v[7:8], s[0:1], s20, v69, 0
	v_add_co_u32_e64 v63, s[0:1], v9, v1
	v_mov_b32_e32 v6, v3
	v_mov_b32_e32 v3, v8
	v_addc_co_u32_e64 v64, s[0:1], v10, v2, s[0:1]
	v_mad_u64_u32 v[3:4], s[0:1], s21, v69, v[3:4]
	v_lshlrev_b64 v[1:2], 4, v[5:6]
	v_mad_u64_u32 v[4:5], s[0:1], s20, v68, 0
	v_add_co_u32_e64 v71, s[0:1], v9, v1
	v_mov_b32_e32 v8, v3
	v_mov_b32_e32 v3, v5
	v_addc_co_u32_e64 v72, s[0:1], v10, v2, s[0:1]
	v_mad_u64_u32 v[5:6], s[0:1], s21, v68, v[3:4]
	v_lshlrev_b64 v[1:2], 4, v[7:8]
	v_mad_u64_u32 v[6:7], s[0:1], s20, v67, 0
	v_add_co_u32_e64 v73, s[0:1], v9, v1
	v_mov_b32_e32 v3, v7
	v_addc_co_u32_e64 v74, s[0:1], v10, v2, s[0:1]
	v_lshlrev_b64 v[1:2], 4, v[4:5]
	v_mad_u64_u32 v[3:4], s[0:1], s21, v67, v[3:4]
	v_mad_u64_u32 v[4:5], s[0:1], s20, v66, 0
	v_add_co_u32_e64 v75, s[0:1], v9, v1
	v_mov_b32_e32 v7, v3
	v_mov_b32_e32 v3, v5
	v_addc_co_u32_e64 v76, s[0:1], v10, v2, s[0:1]
	v_lshlrev_b64 v[1:2], 4, v[6:7]
	v_mad_u64_u32 v[5:6], s[0:1], s21, v66, v[3:4]
	v_mad_u64_u32 v[6:7], s[0:1], s20, v65, 0
	v_add_co_u32_e64 v77, s[0:1], v9, v1
	v_mov_b32_e32 v3, v7
	v_addc_co_u32_e64 v78, s[0:1], v10, v2, s[0:1]
	v_lshlrev_b64 v[1:2], 4, v[4:5]
	v_mad_u64_u32 v[3:4], s[0:1], s21, v65, v[3:4]
	v_mad_u64_u32 v[4:5], s[0:1], s20, v60, 0
	v_add_co_u32_e64 v79, s[0:1], v9, v1
	v_mov_b32_e32 v7, v3
	v_mov_b32_e32 v3, v5
	v_addc_co_u32_e64 v80, s[0:1], v10, v2, s[0:1]
	v_lshlrev_b64 v[1:2], 4, v[6:7]
	v_mad_u64_u32 v[5:6], s[0:1], s21, v60, v[3:4]
	;; [unrolled: 13-line block ×4, first 2 shown]
	v_mad_u64_u32 v[6:7], s[0:1], s20, v55, 0
	v_add_co_u32_e64 v89, s[0:1], v9, v1
	v_mov_b32_e32 v3, v7
	v_addc_co_u32_e64 v90, s[0:1], v10, v2, s[0:1]
	v_lshlrev_b64 v[1:2], 4, v[4:5]
	v_mad_u64_u32 v[3:4], s[0:1], s21, v55, v[3:4]
	v_add_co_u32_e64 v91, s[0:1], v9, v1
	v_mov_b32_e32 v7, v3
	v_addc_co_u32_e64 v92, s[0:1], v10, v2, s[0:1]
	v_lshlrev_b64 v[1:2], 4, v[6:7]
	v_add_co_u32_e64 v93, s[0:1], v9, v1
	v_addc_co_u32_e64 v94, s[0:1], v10, v2, s[0:1]
	global_load_dwordx4 v[1:4], v[63:64], off
	global_load_dwordx4 v[41:44], v[71:72], off
	;; [unrolled: 1-line block ×13, first 2 shown]
.LBB0_13:
	s_or_b64 exec, exec, s[18:19]
	v_mov_b32_e32 v64, s5
	v_or_b32_e32 v63, s4, v112
	v_cmp_gt_u64_e64 s[0:1], s[28:29], v[63:64]
	s_xor_b64 s[4:5], vcc, -1
	s_and_b64 s[18:19], s[2:3], s[0:1]
	s_and_b64 s[4:5], s[4:5], s[18:19]
	s_and_saveexec_b64 s[18:19], s[4:5]
	s_cbranch_execz .LBB0_15
; %bb.14:
	s_waitcnt vmcnt(12)
	v_mad_u64_u32 v[1:2], s[4:5], s22, v112, 0
	v_mad_u64_u32 v[3:4], s[4:5], s20, v113, 0
	s_waitcnt vmcnt(1)
	v_mad_u64_u32 v[5:6], s[4:5], s23, v112, v[2:3]
	v_mov_b32_e32 v2, v4
	v_mad_u64_u32 v[6:7], s[4:5], s21, v113, v[2:3]
	v_mov_b32_e32 v2, v5
	v_mov_b32_e32 v5, s13
	v_add_co_u32_e64 v7, s[4:5], s12, v53
	v_mov_b32_e32 v4, v6
	v_addc_co_u32_e64 v8, s[4:5], v5, v54, s[4:5]
	v_mad_u64_u32 v[5:6], s[4:5], s20, v70, 0
	v_lshlrev_b64 v[1:2], 4, v[1:2]
	v_add_co_u32_e64 v64, s[4:5], v7, v1
	v_addc_co_u32_e64 v71, s[4:5], v8, v2, s[4:5]
	v_lshlrev_b64 v[1:2], 4, v[3:4]
	v_mov_b32_e32 v3, v6
	v_mad_u64_u32 v[3:4], s[4:5], s21, v70, v[3:4]
	v_add_co_u32_e64 v7, s[4:5], v64, v1
	v_mov_b32_e32 v6, v3
	v_addc_co_u32_e64 v8, s[4:5], v71, v2, s[4:5]
	v_lshlrev_b64 v[1:2], 4, v[5:6]
	v_mad_u64_u32 v[5:6], s[4:5], s20, v69, 0
	s_waitcnt vmcnt(0)
	v_add_co_u32_e64 v9, s[4:5], v64, v1
	v_mov_b32_e32 v1, v6
	v_addc_co_u32_e64 v10, s[4:5], v71, v2, s[4:5]
	v_mad_u64_u32 v[11:12], s[4:5], s21, v69, v[1:2]
	v_mad_u64_u32 v[12:13], s[4:5], s20, v68, 0
	global_load_dwordx4 v[1:4], v[7:8], off
	global_load_dwordx4 v[41:44], v[9:10], off
	v_mov_b32_e32 v6, v11
	v_mov_b32_e32 v7, v13
	v_mad_u64_u32 v[7:8], s[4:5], s21, v68, v[7:8]
	v_lshlrev_b64 v[5:6], 4, v[5:6]
	v_add_co_u32_e64 v5, s[4:5], v64, v5
	v_addc_co_u32_e64 v6, s[4:5], v71, v6, s[4:5]
	v_mov_b32_e32 v13, v7
	v_mad_u64_u32 v[9:10], s[4:5], s20, v67, 0
	v_lshlrev_b64 v[7:8], 4, v[12:13]
	v_add_co_u32_e64 v7, s[4:5], v64, v7
	v_addc_co_u32_e64 v8, s[4:5], v71, v8, s[4:5]
	v_mad_u64_u32 v[10:11], s[4:5], s21, v67, v[10:11]
	v_mad_u64_u32 v[11:12], s[4:5], s20, v66, 0
	global_load_dwordx4 v[49:52], v[5:6], off
	global_load_dwordx4 v[45:48], v[7:8], off
	v_lshlrev_b64 v[5:6], 4, v[9:10]
	v_mov_b32_e32 v7, v12
	v_mad_u64_u32 v[7:8], s[4:5], s21, v66, v[7:8]
	v_add_co_u32_e64 v5, s[4:5], v64, v5
	v_addc_co_u32_e64 v6, s[4:5], v71, v6, s[4:5]
	v_mov_b32_e32 v12, v7
	v_mad_u64_u32 v[9:10], s[4:5], s20, v65, 0
	v_lshlrev_b64 v[7:8], 4, v[11:12]
	v_add_co_u32_e64 v7, s[4:5], v64, v7
	v_addc_co_u32_e64 v8, s[4:5], v71, v8, s[4:5]
	v_mad_u64_u32 v[10:11], s[4:5], s21, v65, v[10:11]
	v_mad_u64_u32 v[11:12], s[4:5], s20, v60, 0
	global_load_dwordx4 v[37:40], v[5:6], off
	global_load_dwordx4 v[33:36], v[7:8], off
	v_lshlrev_b64 v[5:6], 4, v[9:10]
	v_mov_b32_e32 v7, v12
	v_mad_u64_u32 v[7:8], s[4:5], s21, v60, v[7:8]
	v_add_co_u32_e64 v5, s[4:5], v64, v5
	v_addc_co_u32_e64 v6, s[4:5], v71, v6, s[4:5]
	v_mov_b32_e32 v12, v7
	v_mad_u64_u32 v[9:10], s[4:5], s20, v59, 0
	v_lshlrev_b64 v[7:8], 4, v[11:12]
	v_add_co_u32_e64 v7, s[4:5], v64, v7
	v_addc_co_u32_e64 v8, s[4:5], v71, v8, s[4:5]
	v_mad_u64_u32 v[10:11], s[4:5], s21, v59, v[10:11]
	v_mad_u64_u32 v[11:12], s[4:5], s20, v58, 0
	global_load_dwordx4 v[29:32], v[5:6], off
	global_load_dwordx4 v[13:16], v[7:8], off
	v_lshlrev_b64 v[5:6], 4, v[9:10]
	v_mov_b32_e32 v7, v12
	v_mad_u64_u32 v[7:8], s[4:5], s21, v58, v[7:8]
	v_add_co_u32_e64 v5, s[4:5], v64, v5
	v_addc_co_u32_e64 v6, s[4:5], v71, v6, s[4:5]
	v_mov_b32_e32 v12, v7
	v_mad_u64_u32 v[9:10], s[4:5], s20, v57, 0
	v_lshlrev_b64 v[7:8], 4, v[11:12]
	v_add_co_u32_e64 v7, s[4:5], v64, v7
	v_addc_co_u32_e64 v8, s[4:5], v71, v8, s[4:5]
	v_mad_u64_u32 v[10:11], s[4:5], s21, v57, v[10:11]
	v_mad_u64_u32 v[11:12], s[4:5], s20, v56, 0
	global_load_dwordx4 v[25:28], v[5:6], off
	global_load_dwordx4 v[21:24], v[7:8], off
	v_lshlrev_b64 v[5:6], 4, v[9:10]
	v_mov_b32_e32 v7, v12
	v_mad_u64_u32 v[7:8], s[4:5], s21, v56, v[7:8]
	v_mad_u64_u32 v[9:10], s[4:5], s20, v55, 0
	v_add_co_u32_e64 v53, s[4:5], v64, v5
	v_mov_b32_e32 v12, v7
	v_mov_b32_e32 v7, v10
	v_addc_co_u32_e64 v54, s[4:5], v71, v6, s[4:5]
	v_lshlrev_b64 v[5:6], 4, v[11:12]
	v_mad_u64_u32 v[10:11], s[4:5], s21, v55, v[7:8]
	v_add_co_u32_e64 v11, s[4:5], v64, v5
	v_lshlrev_b64 v[9:10], 4, v[9:10]
	v_addc_co_u32_e64 v12, s[4:5], v71, v6, s[4:5]
	v_add_co_u32_e64 v9, s[4:5], v64, v9
	v_addc_co_u32_e64 v10, s[4:5], v71, v10, s[4:5]
	global_load_dwordx4 v[17:20], v[53:54], off
	global_load_dwordx4 v[5:8], v[11:12], off
	s_nop 0
	global_load_dwordx4 v[9:12], v[9:10], off
.LBB0_15:
	s_or_b64 exec, exec, s[18:19]
	s_and_saveexec_b64 s[4:5], s[2:3]
	s_cbranch_execz .LBB0_17
; %bb.16:
	s_waitcnt vmcnt(0)
	v_add_f64 v[74:75], v[41:42], -v[9:10]
	s_mov_b32 s2, 0x4bc48dbf
	s_mov_b32 s3, 0xbfcea1e5
	v_add_f64 v[70:71], v[49:50], -v[5:6]
	v_add_f64 v[72:73], v[43:44], v[11:12]
	v_add_f64 v[104:105], v[41:42], v[9:10]
	s_mov_b32 s12, 0x4267c47c
	s_mov_b32 s18, 0x93053d00
	v_mul_f64 v[55:56], v[74:75], s[2:3]
	s_mov_b32 s13, 0x3fddbe06
	s_mov_b32 s19, 0xbfef11f4
	v_add_f64 v[66:67], v[51:52], v[7:8]
	v_mul_f64 v[57:58], v[70:71], s[12:13]
	v_add_f64 v[100:101], v[43:44], -v[11:12]
	v_mul_f64 v[108:109], v[104:105], s[18:19]
	v_add_f64 v[92:93], v[49:50], v[5:6]
	v_fma_f64 v[53:54], v[72:73], s[18:19], v[55:56]
	s_mov_b32 s22, 0xe00740e9
	s_mov_b32 s23, 0x3fec55a7
	;; [unrolled: 1-line block ×4, first 2 shown]
	v_fma_f64 v[82:83], v[66:67], s[22:23], v[57:58]
	v_fma_f64 v[86:87], v[100:101], s[30:31], v[108:109]
	v_add_f64 v[80:81], v[51:52], -v[7:8]
	v_add_f64 v[84:85], v[53:54], v[3:4]
	v_mul_f64 v[110:111], v[92:93], s[22:23]
	v_add_f64 v[96:97], v[17:18], v[45:46]
	s_mov_b32 s28, 0xd0032e0c
	s_mov_b32 s29, 0xbfe7f3cc
	;; [unrolled: 1-line block ×4, first 2 shown]
	v_add_f64 v[86:87], v[86:87], v[1:2]
	v_add_f64 v[84:85], v[82:83], v[84:85]
	v_fma_f64 v[90:91], v[80:81], s[48:49], v[110:111]
	v_mul_f64 v[114:115], v[96:97], s[28:29]
	v_add_f64 v[82:83], v[47:48], -v[19:20]
	v_add_f64 v[98:99], v[21:22], v[37:38]
	s_mov_b32 s20, 0x24c2f84
	s_mov_b32 s40, 0x1ea71119
	;; [unrolled: 1-line block ×6, first 2 shown]
	v_add_f64 v[90:91], v[90:91], v[86:87]
	v_fma_f64 v[116:117], v[82:83], s[34:35], v[114:115]
	v_mul_f64 v[118:119], v[98:99], s[40:41]
	v_add_f64 v[86:87], v[39:40], -v[23:24]
	v_add_f64 v[94:95], v[25:26], v[33:34]
	s_mov_b32 s38, 0x42a4c3d2
	s_mov_b32 s42, 0xb2365da1
	;; [unrolled: 1-line block ×6, first 2 shown]
	v_add_f64 v[68:69], v[45:46], -v[17:18]
	v_add_f64 v[116:117], v[116:117], v[90:91]
	v_fma_f64 v[122:123], v[86:87], s[44:45], v[118:119]
	v_mul_f64 v[124:125], v[94:95], s[42:43]
	v_add_f64 v[90:91], v[35:36], -v[27:28]
	s_mov_b32 s36, 0x2ef20147
	s_mov_b32 s37, 0xbfedeba7
	;; [unrolled: 1-line block ×4, first 2 shown]
	v_add_f64 v[64:65], v[19:20], v[47:48]
	v_mul_f64 v[59:60], v[68:69], s[20:21]
	v_add_f64 v[116:117], v[122:123], v[116:117]
	v_fma_f64 v[55:56], v[72:73], s[18:19], -v[55:56]
	v_fma_f64 v[122:123], v[90:91], s[46:47], v[124:125]
	v_add_f64 v[78:79], v[37:38], -v[21:22]
	v_fma_f64 v[57:58], v[66:67], s[22:23], -v[57:58]
	v_add_f64 v[76:77], v[23:24], v[39:40]
	v_fma_f64 v[130:131], v[80:81], s[12:13], v[110:111]
	v_fma_f64 v[88:89], v[64:65], s[28:29], v[59:60]
	v_mul_f64 v[134:135], v[74:75], s[20:21]
	v_add_f64 v[55:56], v[55:56], v[3:4]
	v_add_f64 v[116:117], v[122:123], v[116:117]
	v_fma_f64 v[122:123], v[100:101], s[2:3], v[108:109]
	v_mul_f64 v[53:54], v[78:79], s[38:39]
	v_mul_f64 v[136:137], v[104:105], s[28:29]
	s_mov_b32 s50, 0x66966769
	v_add_f64 v[106:107], v[88:89], v[84:85]
	v_add_f64 v[88:89], v[33:34], -v[25:26]
	v_add_f64 v[55:56], v[57:58], v[55:56]
	v_fma_f64 v[57:58], v[64:65], s[28:29], -v[59:60]
	v_add_f64 v[122:123], v[122:123], v[1:2]
	s_mov_b32 s54, 0xebaa3ed8
	s_mov_b32 s51, 0x3fefc445
	s_mov_b32 s55, 0x3fbedb7d
	v_fma_f64 v[102:103], v[76:77], s[40:41], v[53:54]
	v_add_f64 v[84:85], v[27:28], v[35:36]
	v_mul_f64 v[120:121], v[88:89], s[36:37]
	v_add_f64 v[55:56], v[57:58], v[55:56]
	v_fma_f64 v[53:54], v[76:77], s[40:41], -v[53:54]
	v_add_f64 v[57:58], v[130:131], v[122:123]
	v_fma_f64 v[114:115], v[82:83], s[20:21], v[114:115]
	v_fma_f64 v[122:123], v[72:73], s[28:29], v[134:135]
	v_mul_f64 v[130:131], v[70:71], s[50:51]
	v_fma_f64 v[140:141], v[100:101], s[34:35], v[136:137]
	v_mul_f64 v[142:143], v[92:93], s[54:55]
	s_mov_b32 s53, 0xbfefc445
	s_mov_b32 s52, s50
	v_add_f64 v[102:103], v[102:103], v[106:107]
	v_fma_f64 v[126:127], v[84:85], s[42:43], v[120:121]
	v_add_f64 v[106:107], v[29:30], -v[13:14]
	v_add_f64 v[108:109], v[13:14], v[29:30]
	v_add_f64 v[53:54], v[53:54], v[55:56]
	v_add_f64 v[55:56], v[114:115], v[57:58]
	v_fma_f64 v[57:58], v[86:87], s[38:39], v[118:119]
	v_add_f64 v[114:115], v[122:123], v[3:4]
	v_fma_f64 v[118:119], v[66:67], s[54:55], v[130:131]
	v_mul_f64 v[122:123], v[68:69], s[44:45]
	v_add_f64 v[140:141], v[140:141], v[1:2]
	v_fma_f64 v[144:145], v[80:81], s[52:53], v[142:143]
	v_mul_f64 v[146:147], v[96:97], s[40:41]
	v_add_f64 v[126:127], v[126:127], v[102:103]
	v_mul_f64 v[128:129], v[106:107], s[50:51]
	v_add_f64 v[102:103], v[15:16], v[31:32]
	v_mul_f64 v[132:133], v[108:109], s[54:55]
	v_add_f64 v[110:111], v[31:32], -v[15:16]
	v_fma_f64 v[120:121], v[84:85], s[42:43], -v[120:121]
	v_add_f64 v[55:56], v[57:58], v[55:56]
	v_fma_f64 v[57:58], v[90:91], s[36:37], v[124:125]
	v_add_f64 v[114:115], v[118:119], v[114:115]
	v_fma_f64 v[118:119], v[64:65], s[40:41], v[122:123]
	v_mul_f64 v[124:125], v[78:79], s[30:31]
	v_add_f64 v[140:141], v[144:145], v[140:141]
	v_fma_f64 v[144:145], v[82:83], s[38:39], v[146:147]
	v_mul_f64 v[148:149], v[98:99], s[18:19]
	v_fma_f64 v[59:60], v[102:103], s[54:55], v[128:129]
	v_fma_f64 v[138:139], v[110:111], s[52:53], v[132:133]
	v_add_f64 v[120:121], v[120:121], v[53:54]
	v_fma_f64 v[128:129], v[102:103], s[54:55], -v[128:129]
	v_add_f64 v[114:115], v[118:119], v[114:115]
	v_fma_f64 v[118:119], v[76:77], s[18:19], v[124:125]
	v_mul_f64 v[150:151], v[88:89], s[12:13]
	v_add_f64 v[140:141], v[144:145], v[140:141]
	v_fma_f64 v[144:145], v[86:87], s[2:3], v[148:149]
	v_mul_f64 v[152:153], v[94:95], s[22:23]
	v_add_f64 v[57:58], v[57:58], v[55:56]
	v_fma_f64 v[132:133], v[110:111], s[50:51], v[132:133]
	v_add_f64 v[55:56], v[59:60], v[126:127]
	v_add_f64 v[53:54], v[138:139], v[116:117]
	;; [unrolled: 1-line block ×4, first 2 shown]
	v_fma_f64 v[116:117], v[84:85], s[22:23], v[150:151]
	v_add_f64 v[118:119], v[144:145], v[140:141]
	v_fma_f64 v[120:121], v[90:91], s[48:49], v[152:153]
	v_mul_f64 v[126:127], v[106:107], s[36:37]
	v_add_f64 v[57:58], v[132:133], v[57:58]
	v_mul_f64 v[128:129], v[108:109], s[42:43]
	v_add_f64 v[43:44], v[43:44], v[3:4]
	v_fma_f64 v[132:133], v[72:73], s[28:29], -v[134:135]
	v_add_f64 v[41:42], v[41:42], v[1:2]
	v_add_f64 v[114:115], v[116:117], v[114:115]
	;; [unrolled: 1-line block ×3, first 2 shown]
	v_fma_f64 v[118:119], v[100:101], s[20:21], v[136:137]
	v_fma_f64 v[120:121], v[102:103], s[42:43], v[126:127]
	v_fma_f64 v[134:135], v[110:111], s[46:47], v[128:129]
	v_fma_f64 v[130:131], v[66:67], s[54:55], -v[130:131]
	v_add_f64 v[132:133], v[132:133], v[3:4]
	v_add_f64 v[51:52], v[51:52], v[43:44]
	;; [unrolled: 1-line block ×3, first 2 shown]
	v_fma_f64 v[136:137], v[80:81], s[50:51], v[142:143]
	v_add_f64 v[118:119], v[118:119], v[1:2]
	v_add_f64 v[43:44], v[120:121], v[114:115]
	v_mul_f64 v[114:115], v[74:75], s[36:37]
	v_add_f64 v[41:42], v[134:135], v[116:117]
	v_add_f64 v[116:117], v[130:131], v[132:133]
	v_fma_f64 v[120:121], v[64:65], s[40:41], -v[122:123]
	v_add_f64 v[51:52], v[47:48], v[51:52]
	v_mul_f64 v[122:123], v[104:105], s[42:43]
	v_add_f64 v[47:48], v[136:137], v[118:119]
	v_fma_f64 v[118:119], v[82:83], s[44:45], v[146:147]
	v_add_f64 v[49:50], v[45:46], v[49:50]
	v_fma_f64 v[45:46], v[72:73], s[42:43], v[114:115]
	v_mul_f64 v[130:131], v[70:71], s[34:35]
	v_add_f64 v[116:117], v[120:121], v[116:117]
	v_fma_f64 v[120:121], v[76:77], s[18:19], -v[124:125]
	v_fma_f64 v[124:125], v[100:101], s[46:47], v[122:123]
	v_mul_f64 v[132:133], v[92:93], s[28:29]
	v_add_f64 v[47:48], v[118:119], v[47:48]
	v_fma_f64 v[118:119], v[86:87], s[30:31], v[148:149]
	v_add_f64 v[45:46], v[45:46], v[3:4]
	v_fma_f64 v[134:135], v[66:67], s[28:29], v[130:131]
	v_mul_f64 v[136:137], v[68:69], s[12:13]
	v_add_f64 v[116:117], v[120:121], v[116:117]
	v_add_f64 v[120:121], v[124:125], v[1:2]
	v_fma_f64 v[124:125], v[80:81], s[20:21], v[132:133]
	v_mul_f64 v[138:139], v[96:97], s[22:23]
	v_fma_f64 v[140:141], v[84:85], s[22:23], -v[150:151]
	v_add_f64 v[47:48], v[118:119], v[47:48]
	v_add_f64 v[45:46], v[134:135], v[45:46]
	v_fma_f64 v[118:119], v[64:65], s[22:23], v[136:137]
	v_mul_f64 v[134:135], v[78:79], s[52:53]
	v_fma_f64 v[142:143], v[90:91], s[12:13], v[152:153]
	v_add_f64 v[120:121], v[124:125], v[120:121]
	v_fma_f64 v[124:125], v[82:83], s[48:49], v[138:139]
	v_mul_f64 v[144:145], v[98:99], s[54:55]
	v_add_f64 v[116:117], v[140:141], v[116:117]
	v_fma_f64 v[126:127], v[102:103], s[42:43], -v[126:127]
	v_add_f64 v[45:46], v[118:119], v[45:46]
	v_fma_f64 v[118:119], v[76:77], s[54:55], v[134:135]
	v_add_f64 v[140:141], v[142:143], v[47:48]
	v_mul_f64 v[142:143], v[88:89], s[30:31]
	v_add_f64 v[120:121], v[124:125], v[120:121]
	v_fma_f64 v[124:125], v[86:87], s[50:51], v[144:145]
	v_mul_f64 v[146:147], v[94:95], s[18:19]
	v_fma_f64 v[128:129], v[110:111], s[36:37], v[128:129]
	v_add_f64 v[47:48], v[126:127], v[116:117]
	v_add_f64 v[116:117], v[118:119], v[45:46]
	v_fma_f64 v[114:115], v[72:73], s[42:43], -v[114:115]
	v_fma_f64 v[118:119], v[84:85], s[18:19], v[142:143]
	v_mul_f64 v[126:127], v[106:107], s[38:39]
	v_add_f64 v[120:121], v[124:125], v[120:121]
	v_fma_f64 v[124:125], v[90:91], s[2:3], v[146:147]
	v_add_f64 v[45:46], v[128:129], v[140:141]
	v_mul_f64 v[128:129], v[108:109], s[40:41]
	v_fma_f64 v[130:131], v[66:67], s[28:29], -v[130:131]
	v_add_f64 v[114:115], v[114:115], v[3:4]
	v_add_f64 v[116:117], v[118:119], v[116:117]
	v_fma_f64 v[118:119], v[102:103], s[40:41], v[126:127]
	v_add_f64 v[51:52], v[39:40], v[51:52]
	v_add_f64 v[120:121], v[124:125], v[120:121]
	v_fma_f64 v[122:123], v[100:101], s[36:37], v[122:123]
	v_fma_f64 v[124:125], v[110:111], s[44:45], v[128:129]
	v_add_f64 v[49:50], v[37:38], v[49:50]
	v_add_f64 v[114:115], v[130:131], v[114:115]
	v_fma_f64 v[130:131], v[64:65], s[22:23], -v[136:137]
	v_add_f64 v[39:40], v[118:119], v[116:117]
	v_mul_f64 v[116:117], v[74:75], s[52:53]
	v_fma_f64 v[118:119], v[80:81], s[34:35], v[132:133]
	v_add_f64 v[122:123], v[122:123], v[1:2]
	v_add_f64 v[37:38], v[124:125], v[120:121]
	;; [unrolled: 1-line block ×3, first 2 shown]
	v_mul_f64 v[120:121], v[104:105], s[54:55]
	v_add_f64 v[35:36], v[130:131], v[114:115]
	v_fma_f64 v[114:115], v[76:77], s[54:55], -v[134:135]
	v_fma_f64 v[124:125], v[72:73], s[54:55], v[116:117]
	v_mul_f64 v[130:131], v[70:71], s[2:3]
	v_add_f64 v[118:119], v[118:119], v[122:123]
	v_fma_f64 v[122:123], v[82:83], s[12:13], v[138:139]
	v_add_f64 v[49:50], v[33:34], v[49:50]
	v_fma_f64 v[33:34], v[100:101], s[50:51], v[120:121]
	v_mul_f64 v[132:133], v[92:93], s[18:19]
	v_add_f64 v[35:36], v[114:115], v[35:36]
	v_add_f64 v[114:115], v[124:125], v[3:4]
	v_fma_f64 v[124:125], v[66:67], s[18:19], v[130:131]
	v_mul_f64 v[134:135], v[68:69], s[46:47]
	v_add_f64 v[118:119], v[122:123], v[118:119]
	v_fma_f64 v[122:123], v[86:87], s[52:53], v[144:145]
	v_add_f64 v[33:34], v[33:34], v[1:2]
	v_fma_f64 v[136:137], v[80:81], s[30:31], v[132:133]
	v_mul_f64 v[138:139], v[96:97], s[42:43]
	v_fma_f64 v[140:141], v[84:85], s[18:19], -v[142:143]
	v_add_f64 v[114:115], v[124:125], v[114:115]
	v_fma_f64 v[124:125], v[64:65], s[42:43], v[134:135]
	v_mul_f64 v[142:143], v[78:79], s[12:13]
	v_add_f64 v[118:119], v[122:123], v[118:119]
	v_fma_f64 v[122:123], v[90:91], s[30:31], v[146:147]
	v_add_f64 v[33:34], v[136:137], v[33:34]
	v_fma_f64 v[136:137], v[82:83], s[36:37], v[138:139]
	v_mul_f64 v[144:145], v[98:99], s[22:23]
	v_add_f64 v[35:36], v[140:141], v[35:36]
	v_add_f64 v[114:115], v[124:125], v[114:115]
	v_fma_f64 v[124:125], v[76:77], s[22:23], v[142:143]
	v_mul_f64 v[140:141], v[88:89], s[44:45]
	v_add_f64 v[118:119], v[122:123], v[118:119]
	v_fma_f64 v[122:123], v[102:103], s[40:41], -v[126:127]
	v_add_f64 v[33:34], v[136:137], v[33:34]
	v_fma_f64 v[126:127], v[86:87], s[48:49], v[144:145]
	v_mul_f64 v[136:137], v[94:95], s[40:41]
	v_fma_f64 v[128:129], v[110:111], s[38:39], v[128:129]
	v_add_f64 v[114:115], v[124:125], v[114:115]
	v_fma_f64 v[124:125], v[84:85], s[40:41], v[140:141]
	v_mul_f64 v[146:147], v[106:107], s[20:21]
	v_add_f64 v[35:36], v[122:123], v[35:36]
	v_fma_f64 v[116:117], v[72:73], s[54:55], -v[116:117]
	v_add_f64 v[122:123], v[126:127], v[33:34]
	v_fma_f64 v[126:127], v[90:91], s[38:39], v[136:137]
	v_mul_f64 v[148:149], v[108:109], s[28:29]
	v_add_f64 v[33:34], v[128:129], v[118:119]
	v_add_f64 v[114:115], v[124:125], v[114:115]
	v_fma_f64 v[118:119], v[102:103], s[28:29], v[146:147]
	v_fma_f64 v[124:125], v[66:67], s[18:19], -v[130:131]
	v_add_f64 v[116:117], v[116:117], v[3:4]
	v_add_f64 v[51:52], v[31:32], v[51:52]
	;; [unrolled: 1-line block ×3, first 2 shown]
	v_fma_f64 v[126:127], v[110:111], s[34:35], v[148:149]
	v_fma_f64 v[120:121], v[100:101], s[52:53], v[120:121]
	v_add_f64 v[49:50], v[29:30], v[49:50]
	v_add_f64 v[31:32], v[118:119], v[114:115]
	v_mul_f64 v[114:115], v[74:75], s[44:45]
	v_add_f64 v[116:117], v[124:125], v[116:117]
	v_fma_f64 v[118:119], v[64:65], s[42:43], -v[134:135]
	v_add_f64 v[51:52], v[15:16], v[51:52]
	v_add_f64 v[29:30], v[126:127], v[122:123]
	v_fma_f64 v[122:123], v[80:81], s[2:3], v[132:133]
	v_add_f64 v[120:121], v[120:121], v[1:2]
	v_mul_f64 v[126:127], v[70:71], s[36:37]
	v_fma_f64 v[15:16], v[72:73], s[40:41], v[114:115]
	v_mul_f64 v[124:125], v[104:105], s[40:41]
	v_add_f64 v[116:117], v[118:119], v[116:117]
	v_fma_f64 v[130:131], v[76:77], s[22:23], -v[142:143]
	v_mul_f64 v[134:135], v[68:69], s[2:3]
	v_mul_f64 v[128:129], v[92:93], s[42:43]
	v_add_f64 v[120:121], v[122:123], v[120:121]
	v_fma_f64 v[122:123], v[82:83], s[46:47], v[138:139]
	v_add_f64 v[15:16], v[15:16], v[3:4]
	v_fma_f64 v[132:133], v[66:67], s[42:43], v[126:127]
	v_fma_f64 v[118:119], v[100:101], s[38:39], v[124:125]
	v_add_f64 v[116:117], v[130:131], v[116:117]
	v_fma_f64 v[130:131], v[64:65], s[18:19], v[134:135]
	v_fma_f64 v[138:139], v[80:81], s[46:47], v[128:129]
	v_mul_f64 v[142:143], v[96:97], s[18:19]
	v_add_f64 v[120:121], v[122:123], v[120:121]
	v_fma_f64 v[122:123], v[86:87], s[12:13], v[144:145]
	v_add_f64 v[15:16], v[132:133], v[15:16]
	v_mul_f64 v[132:133], v[78:79], s[34:35]
	v_add_f64 v[118:119], v[118:119], v[1:2]
	v_fma_f64 v[140:141], v[84:85], s[40:41], -v[140:141]
	v_mul_f64 v[144:145], v[98:99], s[28:29]
	v_mul_f64 v[150:151], v[94:95], s[54:55]
	v_add_f64 v[49:50], v[13:14], v[49:50]
	v_add_f64 v[120:121], v[122:123], v[120:121]
	v_fma_f64 v[122:123], v[90:91], s[44:45], v[136:137]
	v_add_f64 v[15:16], v[130:131], v[15:16]
	v_fma_f64 v[130:131], v[76:77], s[28:29], v[132:133]
	v_mul_f64 v[136:137], v[88:89], s[50:51]
	v_add_f64 v[118:119], v[138:139], v[118:119]
	v_fma_f64 v[138:139], v[82:83], s[30:31], v[142:143]
	v_add_f64 v[116:117], v[140:141], v[116:117]
	v_fma_f64 v[140:141], v[110:111], s[20:21], v[148:149]
	v_add_f64 v[120:121], v[122:123], v[120:121]
	v_fma_f64 v[122:123], v[102:103], s[28:29], -v[146:147]
	v_add_f64 v[130:131], v[130:131], v[15:16]
	v_fma_f64 v[146:147], v[84:85], s[54:55], v[136:137]
	v_mul_f64 v[148:149], v[106:107], s[12:13]
	v_add_f64 v[118:119], v[138:139], v[118:119]
	v_fma_f64 v[138:139], v[86:87], s[20:21], v[144:145]
	v_fma_f64 v[114:115], v[72:73], s[40:41], -v[114:115]
	v_add_f64 v[13:14], v[140:141], v[120:121]
	v_add_f64 v[15:16], v[122:123], v[116:117]
	v_mul_f64 v[152:153], v[108:109], s[22:23]
	v_add_f64 v[116:117], v[146:147], v[130:131]
	v_fma_f64 v[120:121], v[102:103], s[22:23], v[148:149]
	v_add_f64 v[51:52], v[27:28], v[51:52]
	v_add_f64 v[118:119], v[138:139], v[118:119]
	v_fma_f64 v[138:139], v[90:91], s[52:53], v[150:151]
	v_mul_f64 v[74:75], v[74:75], s[48:49]
	v_add_f64 v[114:115], v[114:115], v[3:4]
	v_fma_f64 v[126:127], v[66:67], s[42:43], -v[126:127]
	v_add_f64 v[49:50], v[25:26], v[49:50]
	v_add_f64 v[27:28], v[120:121], v[116:117]
	v_fma_f64 v[116:117], v[100:101], s[44:45], v[124:125]
	v_fma_f64 v[122:123], v[110:111], s[48:49], v[152:153]
	v_add_f64 v[118:119], v[138:139], v[118:119]
	v_mul_f64 v[104:105], v[104:105], s[22:23]
	v_add_f64 v[23:24], v[23:24], v[51:52]
	v_fma_f64 v[51:52], v[72:73], s[22:23], v[74:75]
	v_add_f64 v[114:115], v[126:127], v[114:115]
	v_fma_f64 v[120:121], v[64:65], s[18:19], -v[134:135]
	v_add_f64 v[21:22], v[21:22], v[49:50]
	v_fma_f64 v[49:50], v[72:73], s[22:23], -v[74:75]
	v_add_f64 v[72:73], v[116:117], v[1:2]
	v_fma_f64 v[74:75], v[80:81], s[36:37], v[128:129]
	v_add_f64 v[25:26], v[122:123], v[118:119]
	v_fma_f64 v[118:119], v[100:101], s[12:13], v[104:105]
	v_add_f64 v[51:52], v[51:52], v[3:4]
	v_add_f64 v[114:115], v[120:121], v[114:115]
	v_fma_f64 v[116:117], v[76:77], s[28:29], -v[132:133]
	v_add_f64 v[3:4], v[49:50], v[3:4]
	v_mul_f64 v[49:50], v[70:71], s[44:45]
	v_add_f64 v[70:71], v[74:75], v[72:73]
	v_fma_f64 v[72:73], v[82:83], s[2:3], v[142:143]
	v_mul_f64 v[74:75], v[92:93], s[40:41]
	v_fma_f64 v[100:101], v[100:101], s[48:49], v[104:105]
	v_add_f64 v[104:105], v[118:119], v[1:2]
	v_add_f64 v[19:20], v[19:20], v[23:24]
	;; [unrolled: 1-line block ×4, first 2 shown]
	v_mul_f64 v[21:22], v[96:97], s[54:55]
	v_add_f64 v[70:71], v[72:73], v[70:71]
	v_fma_f64 v[72:73], v[86:87], s[34:35], v[144:145]
	v_fma_f64 v[114:115], v[80:81], s[38:39], v[74:75]
	v_add_f64 v[1:2], v[100:101], v[1:2]
	v_fma_f64 v[92:93], v[84:85], s[54:55], -v[136:137]
	v_fma_f64 v[100:101], v[66:67], s[40:41], v[49:50]
	v_mul_f64 v[68:69], v[68:69], s[52:53]
	v_fma_f64 v[49:50], v[66:67], s[40:41], -v[49:50]
	v_fma_f64 v[66:67], v[82:83], s[50:51], v[21:22]
	v_add_f64 v[70:71], v[72:73], v[70:71]
	v_add_f64 v[72:73], v[114:115], v[104:105]
	v_mul_f64 v[96:97], v[98:99], s[42:43]
	v_fma_f64 v[74:75], v[80:81], s[44:45], v[74:75]
	v_add_f64 v[23:24], v[92:93], v[23:24]
	v_fma_f64 v[92:93], v[64:65], s[54:55], v[68:69]
	v_mul_f64 v[78:79], v[78:79], s[36:37]
	v_fma_f64 v[98:99], v[90:91], s[50:51], v[150:151]
	v_fma_f64 v[64:65], v[64:65], s[54:55], -v[68:69]
	v_add_f64 v[3:4], v[49:50], v[3:4]
	v_add_f64 v[49:50], v[66:67], v[72:73]
	v_fma_f64 v[66:67], v[86:87], s[46:47], v[96:97]
	v_fma_f64 v[21:22], v[82:83], s[52:53], v[21:22]
	v_add_f64 v[1:2], v[74:75], v[1:2]
	v_add_f64 v[51:52], v[100:101], v[51:52]
	;; [unrolled: 1-line block ×3, first 2 shown]
	v_fma_f64 v[70:71], v[76:77], s[42:43], -v[78:79]
	v_mul_f64 v[72:73], v[88:89], s[20:21]
	v_add_f64 v[3:4], v[64:65], v[3:4]
	v_add_f64 v[49:50], v[66:67], v[49:50]
	v_mul_f64 v[66:67], v[94:95], s[28:29]
	v_fma_f64 v[74:75], v[86:87], s[36:37], v[96:97]
	v_add_f64 v[1:2], v[21:22], v[1:2]
	v_add_f64 v[51:52], v[92:93], v[51:52]
	v_fma_f64 v[92:93], v[76:77], s[42:43], v[78:79]
	v_fma_f64 v[21:22], v[84:85], s[28:29], -v[72:73]
	v_add_f64 v[3:4], v[70:71], v[3:4]
	v_mul_f64 v[64:65], v[106:107], s[2:3]
	v_fma_f64 v[78:79], v[90:91], s[20:21], v[66:67]
	v_mul_f64 v[80:81], v[108:109], s[18:19]
	v_add_f64 v[1:2], v[74:75], v[1:2]
	v_fma_f64 v[70:71], v[84:85], s[28:29], v[72:73]
	v_add_f64 v[51:52], v[92:93], v[51:52]
	v_add_f64 v[19:20], v[7:8], v[19:20]
	;; [unrolled: 1-line block ×3, first 2 shown]
	v_fma_f64 v[3:4], v[90:91], s[34:35], v[66:67]
	v_add_f64 v[5:6], v[5:6], v[17:18]
	v_fma_f64 v[76:77], v[102:103], s[18:19], v[64:65]
	v_fma_f64 v[64:65], v[102:103], s[18:19], -v[64:65]
	v_fma_f64 v[17:18], v[110:111], s[2:3], v[80:81]
	v_add_f64 v[1:2], v[78:79], v[1:2]
	v_fma_f64 v[72:73], v[102:103], s[22:23], -v[148:149]
	v_fma_f64 v[66:67], v[110:111], s[12:13], v[152:153]
	v_add_f64 v[51:52], v[70:71], v[51:52]
	v_fma_f64 v[70:71], v[110:111], s[30:31], v[80:81]
	v_add_f64 v[49:50], v[3:4], v[49:50]
	v_add_f64 v[11:12], v[11:12], v[19:20]
	;; [unrolled: 1-line block ×7, first 2 shown]
	v_mul_u32_u24_e32 v21, 0xd00, v113
	v_lshlrev_b32_e32 v22, 4, v112
	v_add3_u32 v21, 0, v21, v22
	v_add_f64 v[19:20], v[76:77], v[51:52]
	v_add_f64 v[17:18], v[70:71], v[49:50]
	ds_write_b128 v21, v[9:12]
	ds_write_b128 v21, v[5:8] offset:256
	ds_write_b128 v21, v[1:4] offset:512
	;; [unrolled: 1-line block ×12, first 2 shown]
.LBB0_17:
	s_or_b64 exec, exec, s[4:5]
	s_or_b64 s[0:1], vcc, s[0:1]
	s_waitcnt vmcnt(0) lgkmcnt(0)
	s_barrier
	s_and_saveexec_b64 s[2:3], s[0:1]
	s_cbranch_execz .LBB0_19
; %bb.18:
	v_mul_lo_u16_e32 v1, 20, v113
	v_mov_b32_e32 v2, 13
	v_mul_lo_u16_sdwa v1, v1, v2 dst_sel:DWORD dst_unused:UNUSED_PAD src0_sel:BYTE_1 src1_sel:DWORD
	v_sub_u16_e32 v1, v113, v1
	v_and_b32_e32 v65, 0xff, v1
	v_mul_u32_u24_e32 v1, 3, v65
	v_lshlrev_b32_e32 v13, 4, v1
	global_load_dwordx4 v[1:4], v13, s[26:27] offset:32
	v_add_u32_e32 v5, 39, v65
	v_mul_lo_u32 v14, v63, v5
	global_load_dwordx4 v[5:8], v13, s[26:27] offset:16
	global_load_dwordx4 v[9:12], v13, s[26:27]
	v_mov_b32_e32 v38, 0x1000
	v_mul_lo_u32 v24, v63, v65
	v_bfe_u32 v13, v14, 8, 8
	v_lshl_or_b32 v22, v13, 4, v38
	v_add_u32_e32 v13, 26, v65
	v_mul_lo_u32 v23, v63, v13
	v_mov_b32_e32 v37, 4
	v_lshlrev_b32_sdwa v21, v37, v14 dst_sel:DWORD dst_unused:UNUSED_PAD src0_sel:DWORD src1_sel:BYTE_0
	global_load_dwordx4 v[13:16], v21, s[16:17]
	global_load_dwordx4 v[17:20], v22, s[16:17]
	v_lshlrev_b32_sdwa v30, v37, v24 dst_sel:DWORD dst_unused:UNUSED_PAD src0_sel:DWORD src1_sel:BYTE_0
	v_bfe_u32 v21, v24, 8, 8
	v_lshlrev_b32_sdwa v39, v37, v23 dst_sel:DWORD dst_unused:UNUSED_PAD src0_sel:DWORD src1_sel:BYTE_0
	v_bfe_u32 v29, v23, 8, 8
	v_lshl_or_b32 v31, v21, 4, v38
	global_load_dwordx4 v[21:24], v30, s[16:17]
	global_load_dwordx4 v[25:28], v31, s[16:17]
	v_add_u32_e32 v30, 13, v65
	v_mul_lo_u32 v40, v63, v30
	v_lshl_or_b32 v41, v29, 4, v38
	global_load_dwordx4 v[29:32], v39, s[16:17]
	global_load_dwordx4 v[33:36], v41, s[16:17]
	v_mad_u64_u32 v[63:64], s[2:3], s10, v112, 0
	v_lshlrev_b32_sdwa v45, v37, v40 dst_sel:DWORD dst_unused:UNUSED_PAD src0_sel:DWORD src1_sel:BYTE_0
	v_bfe_u32 v37, v40, 8, 8
	v_lshl_or_b32 v46, v37, 4, v38
	global_load_dwordx4 v[37:40], v45, s[16:17]
	global_load_dwordx4 v[41:44], v46, s[16:17]
	s_load_dwordx2 s[0:1], s[6:7], 0x0
	v_mul_u32_u24_e32 v0, 0x13c, v0
	v_mov_b32_e32 v47, 52
	v_mul_lo_u16_sdwa v66, v0, v47 dst_sel:DWORD dst_unused:UNUSED_PAD src0_sel:WORD_1 src1_sel:DWORD
	v_mov_b32_e32 v0, v64
	v_lshlrev_b32_e32 v45, 8, v113
	v_lshlrev_b32_e32 v46, 4, v112
	v_add_u32_e32 v76, v66, v65
	v_add3_u32 v57, 0, v45, v46
	ds_read_b128 v[45:48], v57
	ds_read_b128 v[49:52], v57 offset:3328
	ds_read_b128 v[53:56], v57 offset:6656
	;; [unrolled: 1-line block ×3, first 2 shown]
	s_waitcnt lgkmcnt(0)
	s_mul_i32 s1, s1, s24
	s_mul_hi_u32 s4, s0, s24
	s_mul_i32 s0, s0, s24
	v_add_u32_e32 v77, 13, v76
	s_add_i32 s1, s4, s1
	v_mad_u64_u32 v[67:68], s[2:3], s8, v77, 0
	s_lshl_b64 s[0:1], s[0:1], 4
	v_lshlrev_b64 v[61:62], 4, v[61:62]
	s_waitcnt vmcnt(10)
	v_mad_u64_u32 v[64:65], s[2:3], s11, v112, v[0:1]
	v_mad_u64_u32 v[65:66], s[2:3], s8, v76, 0
	s_add_u32 s2, s14, s0
	s_addc_u32 s3, s15, s1
	v_mov_b32_e32 v0, v66
	v_mad_u64_u32 v[69:70], s[0:1], s9, v76, v[0:1]
	s_waitcnt vmcnt(9)
	v_mul_f64 v[70:71], v[53:54], v[7:8]
	s_waitcnt vmcnt(8)
	v_mul_f64 v[72:73], v[51:52], v[11:12]
	v_mul_f64 v[74:75], v[59:60], v[3:4]
	;; [unrolled: 1-line block ×5, first 2 shown]
	v_mov_b32_e32 v0, s3
	v_add_co_u32_e32 v61, vcc, s2, v61
	v_addc_co_u32_e32 v62, vcc, v0, v62, vcc
	v_fma_f64 v[55:56], v[55:56], v[5:6], -v[70:71]
	v_fma_f64 v[49:50], v[49:50], v[9:10], v[72:73]
	v_fma_f64 v[57:58], v[57:58], v[1:2], v[74:75]
	;; [unrolled: 1-line block ×3, first 2 shown]
	v_fma_f64 v[7:8], v[51:52], v[9:10], -v[11:12]
	v_fma_f64 v[0:1], v[59:60], v[1:2], -v[3:4]
	s_waitcnt vmcnt(4)
	v_mul_f64 v[2:3], v[23:24], v[27:28]
	v_mul_f64 v[9:10], v[21:22], v[27:28]
	v_add_f64 v[27:28], v[47:48], -v[55:56]
	v_mul_f64 v[11:12], v[15:16], v[19:20]
	v_add_f64 v[51:52], v[49:50], -v[57:58]
	v_add_f64 v[4:5], v[45:46], -v[5:6]
	v_mul_f64 v[19:20], v[13:14], v[19:20]
	v_add_f64 v[0:1], v[7:8], -v[0:1]
	s_waitcnt vmcnt(2)
	v_mul_f64 v[53:54], v[31:32], v[35:36]
	v_mul_f64 v[35:36], v[29:30], v[35:36]
	v_fma_f64 v[47:48], v[47:48], 2.0, -v[27:28]
	v_fma_f64 v[21:22], v[21:22], v[25:26], -v[2:3]
	v_fma_f64 v[49:50], v[49:50], 2.0, -v[51:52]
	v_fma_f64 v[45:46], v[45:46], 2.0, -v[4:5]
	v_fma_f64 v[2:3], v[23:24], v[25:26], v[9:10]
	v_fma_f64 v[6:7], v[7:8], 2.0, -v[0:1]
	v_fma_f64 v[8:9], v[13:14], v[17:18], -v[11:12]
	v_fma_f64 v[10:11], v[15:16], v[17:18], v[19:20]
	s_waitcnt vmcnt(0)
	v_mul_f64 v[55:56], v[39:40], v[43:44]
	v_mul_f64 v[43:44], v[37:38], v[43:44]
	v_add_f64 v[0:1], v[4:5], v[0:1]
	v_add_f64 v[14:15], v[45:46], -v[49:50]
	v_fma_f64 v[16:17], v[29:30], v[33:34], -v[53:54]
	v_add_f64 v[6:7], v[47:48], -v[6:7]
	v_fma_f64 v[18:19], v[31:32], v[33:34], v[35:36]
	v_add_f64 v[12:13], v[27:28], -v[51:52]
	v_fma_f64 v[23:24], v[37:38], v[41:42], -v[55:56]
	v_fma_f64 v[25:26], v[39:40], v[41:42], v[43:44]
	v_fma_f64 v[29:30], v[4:5], 2.0, -v[0:1]
	v_fma_f64 v[31:32], v[45:46], 2.0, -v[14:15]
	v_mul_f64 v[4:5], v[0:1], v[10:11]
	v_fma_f64 v[33:34], v[47:48], 2.0, -v[6:7]
	v_mul_f64 v[35:36], v[14:15], v[18:19]
	v_mul_f64 v[18:19], v[6:7], v[18:19]
	v_fma_f64 v[27:28], v[27:28], 2.0, -v[12:13]
	v_mul_f64 v[10:11], v[12:13], v[10:11]
	v_lshlrev_b64 v[63:64], 4, v[63:64]
	v_mul_f64 v[39:40], v[31:32], v[2:3]
	v_mul_f64 v[37:38], v[29:30], v[25:26]
	;; [unrolled: 1-line block ×3, first 2 shown]
	v_fma_f64 v[2:3], v[12:13], v[8:9], -v[4:5]
	v_fma_f64 v[4:5], v[14:15], v[16:17], v[18:19]
	v_mul_f64 v[25:26], v[27:28], v[25:26]
	v_mov_b32_e32 v66, v69
	v_fma_f64 v[6:7], v[6:7], v[16:17], -v[35:36]
	v_fma_f64 v[14:15], v[33:34], v[21:22], -v[39:40]
	v_add_co_u32_e32 v20, vcc, v61, v63
	v_fma_f64 v[12:13], v[31:32], v[21:22], v[41:42]
	v_lshlrev_b64 v[16:17], 4, v[65:66]
	v_addc_co_u32_e32 v21, vcc, v62, v64, vcc
	v_add_co_u32_e32 v16, vcc, v20, v16
	v_addc_co_u32_e32 v17, vcc, v21, v17, vcc
	v_mov_b32_e32 v18, v68
	global_store_dwordx4 v[16:17], v[12:15], off
	v_add_u32_e32 v16, 26, v76
	v_mad_u64_u32 v[18:19], s[0:1], s9, v77, v[18:19]
	v_mad_u64_u32 v[14:15], s[0:1], s8, v16, 0
	v_fma_f64 v[0:1], v[0:1], v[8:9], v[10:11]
	v_fma_f64 v[10:11], v[27:28], v[23:24], -v[37:38]
	v_fma_f64 v[8:9], v[29:30], v[23:24], v[25:26]
	v_mov_b32_e32 v68, v18
	v_mad_u64_u32 v[15:16], s[0:1], s9, v16, v[15:16]
	v_add_u32_e32 v18, 39, v76
	v_lshlrev_b64 v[12:13], 4, v[67:68]
	v_mad_u64_u32 v[16:17], s[0:1], s8, v18, 0
	v_add_co_u32_e32 v12, vcc, v20, v12
	v_addc_co_u32_e32 v13, vcc, v21, v13, vcc
	global_store_dwordx4 v[12:13], v[8:11], off
	s_nop 0
	v_mov_b32_e32 v10, v17
	v_mad_u64_u32 v[10:11], s[0:1], s9, v18, v[10:11]
	v_lshlrev_b64 v[8:9], 4, v[14:15]
	v_add_co_u32_e32 v8, vcc, v20, v8
	v_addc_co_u32_e32 v9, vcc, v21, v9, vcc
	v_mov_b32_e32 v17, v10
	global_store_dwordx4 v[8:9], v[4:7], off
	s_nop 0
	v_lshlrev_b64 v[4:5], 4, v[16:17]
	v_add_co_u32_e32 v4, vcc, v20, v4
	v_addc_co_u32_e32 v5, vcc, v21, v5, vcc
	global_store_dwordx4 v[4:5], v[0:3], off
.LBB0_19:
	s_endpgm
	.section	.rodata,"a",@progbits
	.p2align	6, 0x0
	.amdhsa_kernel fft_rtc_back_len52_factors_13_4_wgs_208_tpt_13_dp_op_CI_CI_sbcc_twdbase8_2step_dirReg
		.amdhsa_group_segment_fixed_size 0
		.amdhsa_private_segment_fixed_size 0
		.amdhsa_kernarg_size 112
		.amdhsa_user_sgpr_count 6
		.amdhsa_user_sgpr_private_segment_buffer 1
		.amdhsa_user_sgpr_dispatch_ptr 0
		.amdhsa_user_sgpr_queue_ptr 0
		.amdhsa_user_sgpr_kernarg_segment_ptr 1
		.amdhsa_user_sgpr_dispatch_id 0
		.amdhsa_user_sgpr_flat_scratch_init 0
		.amdhsa_user_sgpr_private_segment_size 0
		.amdhsa_uses_dynamic_stack 0
		.amdhsa_system_sgpr_private_segment_wavefront_offset 0
		.amdhsa_system_sgpr_workgroup_id_x 1
		.amdhsa_system_sgpr_workgroup_id_y 0
		.amdhsa_system_sgpr_workgroup_id_z 0
		.amdhsa_system_sgpr_workgroup_info 0
		.amdhsa_system_vgpr_workitem_id 0
		.amdhsa_next_free_vgpr 154
		.amdhsa_next_free_sgpr 56
		.amdhsa_reserve_vcc 1
		.amdhsa_reserve_flat_scratch 0
		.amdhsa_float_round_mode_32 0
		.amdhsa_float_round_mode_16_64 0
		.amdhsa_float_denorm_mode_32 3
		.amdhsa_float_denorm_mode_16_64 3
		.amdhsa_dx10_clamp 1
		.amdhsa_ieee_mode 1
		.amdhsa_fp16_overflow 0
		.amdhsa_exception_fp_ieee_invalid_op 0
		.amdhsa_exception_fp_denorm_src 0
		.amdhsa_exception_fp_ieee_div_zero 0
		.amdhsa_exception_fp_ieee_overflow 0
		.amdhsa_exception_fp_ieee_underflow 0
		.amdhsa_exception_fp_ieee_inexact 0
		.amdhsa_exception_int_div_zero 0
	.end_amdhsa_kernel
	.text
.Lfunc_end0:
	.size	fft_rtc_back_len52_factors_13_4_wgs_208_tpt_13_dp_op_CI_CI_sbcc_twdbase8_2step_dirReg, .Lfunc_end0-fft_rtc_back_len52_factors_13_4_wgs_208_tpt_13_dp_op_CI_CI_sbcc_twdbase8_2step_dirReg
                                        ; -- End function
	.section	.AMDGPU.csdata,"",@progbits
; Kernel info:
; codeLenInByte = 7884
; NumSgprs: 60
; NumVgprs: 154
; ScratchSize: 0
; MemoryBound: 1
; FloatMode: 240
; IeeeMode: 1
; LDSByteSize: 0 bytes/workgroup (compile time only)
; SGPRBlocks: 7
; VGPRBlocks: 38
; NumSGPRsForWavesPerEU: 60
; NumVGPRsForWavesPerEU: 154
; Occupancy: 1
; WaveLimiterHint : 1
; COMPUTE_PGM_RSRC2:SCRATCH_EN: 0
; COMPUTE_PGM_RSRC2:USER_SGPR: 6
; COMPUTE_PGM_RSRC2:TRAP_HANDLER: 0
; COMPUTE_PGM_RSRC2:TGID_X_EN: 1
; COMPUTE_PGM_RSRC2:TGID_Y_EN: 0
; COMPUTE_PGM_RSRC2:TGID_Z_EN: 0
; COMPUTE_PGM_RSRC2:TIDIG_COMP_CNT: 0
	.type	__hip_cuid_61465bcc22cbb265,@object ; @__hip_cuid_61465bcc22cbb265
	.section	.bss,"aw",@nobits
	.globl	__hip_cuid_61465bcc22cbb265
__hip_cuid_61465bcc22cbb265:
	.byte	0                               ; 0x0
	.size	__hip_cuid_61465bcc22cbb265, 1

	.ident	"AMD clang version 19.0.0git (https://github.com/RadeonOpenCompute/llvm-project roc-6.4.0 25133 c7fe45cf4b819c5991fe208aaa96edf142730f1d)"
	.section	".note.GNU-stack","",@progbits
	.addrsig
	.addrsig_sym __hip_cuid_61465bcc22cbb265
	.amdgpu_metadata
---
amdhsa.kernels:
  - .args:
      - .actual_access:  read_only
        .address_space:  global
        .offset:         0
        .size:           8
        .value_kind:     global_buffer
      - .address_space:  global
        .offset:         8
        .size:           8
        .value_kind:     global_buffer
      - .offset:         16
        .size:           8
        .value_kind:     by_value
      - .actual_access:  read_only
        .address_space:  global
        .offset:         24
        .size:           8
        .value_kind:     global_buffer
      - .actual_access:  read_only
        .address_space:  global
        .offset:         32
        .size:           8
        .value_kind:     global_buffer
      - .actual_access:  read_only
        .address_space:  global
        .offset:         40
        .size:           8
        .value_kind:     global_buffer
      - .offset:         48
        .size:           8
        .value_kind:     by_value
      - .actual_access:  read_only
        .address_space:  global
        .offset:         56
        .size:           8
        .value_kind:     global_buffer
      - .actual_access:  read_only
        .address_space:  global
        .offset:         64
        .size:           8
        .value_kind:     global_buffer
      - .offset:         72
        .size:           4
        .value_kind:     by_value
      - .actual_access:  read_only
        .address_space:  global
        .offset:         80
        .size:           8
        .value_kind:     global_buffer
      - .actual_access:  read_only
        .address_space:  global
        .offset:         88
        .size:           8
        .value_kind:     global_buffer
      - .actual_access:  read_only
        .address_space:  global
        .offset:         96
        .size:           8
        .value_kind:     global_buffer
      - .actual_access:  write_only
        .address_space:  global
        .offset:         104
        .size:           8
        .value_kind:     global_buffer
    .group_segment_fixed_size: 0
    .kernarg_segment_align: 8
    .kernarg_segment_size: 112
    .language:       OpenCL C
    .language_version:
      - 2
      - 0
    .max_flat_workgroup_size: 208
    .name:           fft_rtc_back_len52_factors_13_4_wgs_208_tpt_13_dp_op_CI_CI_sbcc_twdbase8_2step_dirReg
    .private_segment_fixed_size: 0
    .sgpr_count:     60
    .sgpr_spill_count: 0
    .symbol:         fft_rtc_back_len52_factors_13_4_wgs_208_tpt_13_dp_op_CI_CI_sbcc_twdbase8_2step_dirReg.kd
    .uniform_work_group_size: 1
    .uses_dynamic_stack: false
    .vgpr_count:     154
    .vgpr_spill_count: 0
    .wavefront_size: 64
amdhsa.target:   amdgcn-amd-amdhsa--gfx906
amdhsa.version:
  - 1
  - 2
...

	.end_amdgpu_metadata
